;; amdgpu-corpus repo=ROCm/rocFFT kind=compiled arch=gfx906 opt=O3
	.text
	.amdgcn_target "amdgcn-amd-amdhsa--gfx906"
	.amdhsa_code_object_version 6
	.protected	fft_rtc_fwd_len630_factors_3_3_5_7_2_wgs_63_tpt_63_halfLds_dp_ip_CI_unitstride_sbrr_C2R_dirReg ; -- Begin function fft_rtc_fwd_len630_factors_3_3_5_7_2_wgs_63_tpt_63_halfLds_dp_ip_CI_unitstride_sbrr_C2R_dirReg
	.globl	fft_rtc_fwd_len630_factors_3_3_5_7_2_wgs_63_tpt_63_halfLds_dp_ip_CI_unitstride_sbrr_C2R_dirReg
	.p2align	8
	.type	fft_rtc_fwd_len630_factors_3_3_5_7_2_wgs_63_tpt_63_halfLds_dp_ip_CI_unitstride_sbrr_C2R_dirReg,@function
fft_rtc_fwd_len630_factors_3_3_5_7_2_wgs_63_tpt_63_halfLds_dp_ip_CI_unitstride_sbrr_C2R_dirReg: ; @fft_rtc_fwd_len630_factors_3_3_5_7_2_wgs_63_tpt_63_halfLds_dp_ip_CI_unitstride_sbrr_C2R_dirReg
; %bb.0:
	s_load_dwordx2 s[12:13], s[4:5], 0x50
	s_load_dwordx4 s[8:11], s[4:5], 0x0
	s_load_dwordx2 s[2:3], s[4:5], 0x18
	v_mul_u32_u24_e32 v1, 0x411, v0
	v_add_u32_sdwa v5, s6, v1 dst_sel:DWORD dst_unused:UNUSED_PAD src0_sel:DWORD src1_sel:WORD_1
	v_mov_b32_e32 v3, 0
	s_waitcnt lgkmcnt(0)
	v_cmp_lt_u64_e64 s[0:1], s[10:11], 2
	v_mov_b32_e32 v1, 0
	v_mov_b32_e32 v6, v3
	s_and_b64 vcc, exec, s[0:1]
	v_mov_b32_e32 v2, 0
	s_cbranch_vccnz .LBB0_8
; %bb.1:
	s_load_dwordx2 s[0:1], s[4:5], 0x10
	s_add_u32 s6, s2, 8
	s_addc_u32 s7, s3, 0
	v_mov_b32_e32 v1, 0
	v_mov_b32_e32 v2, 0
	s_waitcnt lgkmcnt(0)
	s_add_u32 s14, s0, 8
	s_addc_u32 s15, s1, 0
	s_mov_b64 s[16:17], 1
.LBB0_2:                                ; =>This Inner Loop Header: Depth=1
	s_load_dwordx2 s[18:19], s[14:15], 0x0
                                        ; implicit-def: $vgpr7_vgpr8
	s_waitcnt lgkmcnt(0)
	v_or_b32_e32 v4, s19, v6
	v_cmp_ne_u64_e32 vcc, 0, v[3:4]
	s_and_saveexec_b64 s[0:1], vcc
	s_xor_b64 s[20:21], exec, s[0:1]
	s_cbranch_execz .LBB0_4
; %bb.3:                                ;   in Loop: Header=BB0_2 Depth=1
	v_cvt_f32_u32_e32 v4, s18
	v_cvt_f32_u32_e32 v7, s19
	s_sub_u32 s0, 0, s18
	s_subb_u32 s1, 0, s19
	v_mac_f32_e32 v4, 0x4f800000, v7
	v_rcp_f32_e32 v4, v4
	v_mul_f32_e32 v4, 0x5f7ffffc, v4
	v_mul_f32_e32 v7, 0x2f800000, v4
	v_trunc_f32_e32 v7, v7
	v_mac_f32_e32 v4, 0xcf800000, v7
	v_cvt_u32_f32_e32 v7, v7
	v_cvt_u32_f32_e32 v4, v4
	v_mul_lo_u32 v8, s0, v7
	v_mul_hi_u32 v9, s0, v4
	v_mul_lo_u32 v11, s1, v4
	v_mul_lo_u32 v10, s0, v4
	v_add_u32_e32 v8, v9, v8
	v_add_u32_e32 v8, v8, v11
	v_mul_hi_u32 v9, v4, v10
	v_mul_lo_u32 v11, v4, v8
	v_mul_hi_u32 v13, v4, v8
	v_mul_hi_u32 v12, v7, v10
	v_mul_lo_u32 v10, v7, v10
	v_mul_hi_u32 v14, v7, v8
	v_add_co_u32_e32 v9, vcc, v9, v11
	v_addc_co_u32_e32 v11, vcc, 0, v13, vcc
	v_mul_lo_u32 v8, v7, v8
	v_add_co_u32_e32 v9, vcc, v9, v10
	v_addc_co_u32_e32 v9, vcc, v11, v12, vcc
	v_addc_co_u32_e32 v10, vcc, 0, v14, vcc
	v_add_co_u32_e32 v8, vcc, v9, v8
	v_addc_co_u32_e32 v9, vcc, 0, v10, vcc
	v_add_co_u32_e32 v4, vcc, v4, v8
	v_addc_co_u32_e32 v7, vcc, v7, v9, vcc
	v_mul_lo_u32 v8, s0, v7
	v_mul_hi_u32 v9, s0, v4
	v_mul_lo_u32 v10, s1, v4
	v_mul_lo_u32 v11, s0, v4
	v_add_u32_e32 v8, v9, v8
	v_add_u32_e32 v8, v8, v10
	v_mul_lo_u32 v12, v4, v8
	v_mul_hi_u32 v13, v4, v11
	v_mul_hi_u32 v14, v4, v8
	;; [unrolled: 1-line block ×3, first 2 shown]
	v_mul_lo_u32 v11, v7, v11
	v_mul_hi_u32 v9, v7, v8
	v_add_co_u32_e32 v12, vcc, v13, v12
	v_addc_co_u32_e32 v13, vcc, 0, v14, vcc
	v_mul_lo_u32 v8, v7, v8
	v_add_co_u32_e32 v11, vcc, v12, v11
	v_addc_co_u32_e32 v10, vcc, v13, v10, vcc
	v_addc_co_u32_e32 v9, vcc, 0, v9, vcc
	v_add_co_u32_e32 v8, vcc, v10, v8
	v_addc_co_u32_e32 v9, vcc, 0, v9, vcc
	v_add_co_u32_e32 v4, vcc, v4, v8
	v_addc_co_u32_e32 v9, vcc, v7, v9, vcc
	v_mad_u64_u32 v[7:8], s[0:1], v5, v9, 0
	v_mul_hi_u32 v10, v5, v4
	v_add_co_u32_e32 v11, vcc, v10, v7
	v_addc_co_u32_e32 v12, vcc, 0, v8, vcc
	v_mad_u64_u32 v[7:8], s[0:1], v6, v4, 0
	v_mad_u64_u32 v[9:10], s[0:1], v6, v9, 0
	v_add_co_u32_e32 v4, vcc, v11, v7
	v_addc_co_u32_e32 v4, vcc, v12, v8, vcc
	v_addc_co_u32_e32 v7, vcc, 0, v10, vcc
	v_add_co_u32_e32 v4, vcc, v4, v9
	v_addc_co_u32_e32 v9, vcc, 0, v7, vcc
	v_mul_lo_u32 v10, s19, v4
	v_mul_lo_u32 v11, s18, v9
	v_mad_u64_u32 v[7:8], s[0:1], s18, v4, 0
	v_add3_u32 v8, v8, v11, v10
	v_sub_u32_e32 v10, v6, v8
	v_mov_b32_e32 v11, s19
	v_sub_co_u32_e32 v7, vcc, v5, v7
	v_subb_co_u32_e64 v10, s[0:1], v10, v11, vcc
	v_subrev_co_u32_e64 v11, s[0:1], s18, v7
	v_subbrev_co_u32_e64 v10, s[0:1], 0, v10, s[0:1]
	v_cmp_le_u32_e64 s[0:1], s19, v10
	v_cndmask_b32_e64 v12, 0, -1, s[0:1]
	v_cmp_le_u32_e64 s[0:1], s18, v11
	v_cndmask_b32_e64 v11, 0, -1, s[0:1]
	v_cmp_eq_u32_e64 s[0:1], s19, v10
	v_cndmask_b32_e64 v10, v12, v11, s[0:1]
	v_add_co_u32_e64 v11, s[0:1], 2, v4
	v_addc_co_u32_e64 v12, s[0:1], 0, v9, s[0:1]
	v_add_co_u32_e64 v13, s[0:1], 1, v4
	v_addc_co_u32_e64 v14, s[0:1], 0, v9, s[0:1]
	v_subb_co_u32_e32 v8, vcc, v6, v8, vcc
	v_cmp_ne_u32_e64 s[0:1], 0, v10
	v_cmp_le_u32_e32 vcc, s19, v8
	v_cndmask_b32_e64 v10, v14, v12, s[0:1]
	v_cndmask_b32_e64 v12, 0, -1, vcc
	v_cmp_le_u32_e32 vcc, s18, v7
	v_cndmask_b32_e64 v7, 0, -1, vcc
	v_cmp_eq_u32_e32 vcc, s19, v8
	v_cndmask_b32_e32 v7, v12, v7, vcc
	v_cmp_ne_u32_e32 vcc, 0, v7
	v_cndmask_b32_e64 v7, v13, v11, s[0:1]
	v_cndmask_b32_e32 v8, v9, v10, vcc
	v_cndmask_b32_e32 v7, v4, v7, vcc
.LBB0_4:                                ;   in Loop: Header=BB0_2 Depth=1
	s_andn2_saveexec_b64 s[0:1], s[20:21]
	s_cbranch_execz .LBB0_6
; %bb.5:                                ;   in Loop: Header=BB0_2 Depth=1
	v_cvt_f32_u32_e32 v4, s18
	s_sub_i32 s20, 0, s18
	v_rcp_iflag_f32_e32 v4, v4
	v_mul_f32_e32 v4, 0x4f7ffffe, v4
	v_cvt_u32_f32_e32 v4, v4
	v_mul_lo_u32 v7, s20, v4
	v_mul_hi_u32 v7, v4, v7
	v_add_u32_e32 v4, v4, v7
	v_mul_hi_u32 v4, v5, v4
	v_mul_lo_u32 v7, v4, s18
	v_add_u32_e32 v8, 1, v4
	v_sub_u32_e32 v7, v5, v7
	v_subrev_u32_e32 v9, s18, v7
	v_cmp_le_u32_e32 vcc, s18, v7
	v_cndmask_b32_e32 v7, v7, v9, vcc
	v_cndmask_b32_e32 v4, v4, v8, vcc
	v_add_u32_e32 v8, 1, v4
	v_cmp_le_u32_e32 vcc, s18, v7
	v_cndmask_b32_e32 v7, v4, v8, vcc
	v_mov_b32_e32 v8, v3
.LBB0_6:                                ;   in Loop: Header=BB0_2 Depth=1
	s_or_b64 exec, exec, s[0:1]
	v_mul_lo_u32 v4, v8, s18
	v_mul_lo_u32 v11, v7, s19
	v_mad_u64_u32 v[9:10], s[0:1], v7, s18, 0
	s_load_dwordx2 s[0:1], s[6:7], 0x0
	s_add_u32 s16, s16, 1
	v_add3_u32 v4, v10, v11, v4
	v_sub_co_u32_e32 v5, vcc, v5, v9
	v_subb_co_u32_e32 v4, vcc, v6, v4, vcc
	s_waitcnt lgkmcnt(0)
	v_mul_lo_u32 v4, s0, v4
	v_mul_lo_u32 v6, s1, v5
	v_mad_u64_u32 v[1:2], s[0:1], s0, v5, v[1:2]
	s_addc_u32 s17, s17, 0
	s_add_u32 s6, s6, 8
	v_add3_u32 v2, v6, v2, v4
	v_mov_b32_e32 v4, s10
	v_mov_b32_e32 v5, s11
	s_addc_u32 s7, s7, 0
	v_cmp_ge_u64_e32 vcc, s[16:17], v[4:5]
	s_add_u32 s14, s14, 8
	s_addc_u32 s15, s15, 0
	s_cbranch_vccnz .LBB0_9
; %bb.7:                                ;   in Loop: Header=BB0_2 Depth=1
	v_mov_b32_e32 v5, v7
	v_mov_b32_e32 v6, v8
	s_branch .LBB0_2
.LBB0_8:
	v_mov_b32_e32 v8, v6
	v_mov_b32_e32 v7, v5
.LBB0_9:
	s_lshl_b64 s[0:1], s[10:11], 3
	s_add_u32 s0, s2, s0
	s_addc_u32 s1, s3, s1
	s_load_dwordx2 s[2:3], s[0:1], 0x0
	s_load_dwordx2 s[6:7], s[4:5], 0x20
	s_waitcnt lgkmcnt(0)
	v_mad_u64_u32 v[1:2], s[0:1], s2, v7, v[1:2]
	s_mov_b32 s0, 0x4104105
	v_mul_lo_u32 v3, s2, v8
	v_mul_lo_u32 v4, s3, v7
	v_mul_hi_u32 v5, v0, s0
	v_cmp_gt_u64_e64 s[0:1], s[6:7], v[7:8]
	v_add3_u32 v2, v4, v2, v3
	v_mul_u32_u24_e32 v3, 63, v5
	v_sub_u32_e32 v4, v0, v3
	v_lshlrev_b64 v[58:59], 4, v[1:2]
	v_mov_b32_e32 v5, 0
	v_mov_b32_e32 v56, v4
	s_and_saveexec_b64 s[2:3], s[0:1]
	s_cbranch_execz .LBB0_13
; %bb.10:
	v_mov_b32_e32 v0, s13
	v_add_co_u32_e32 v3, vcc, s12, v58
	v_addc_co_u32_e32 v2, vcc, v0, v59, vcc
	v_lshlrev_b64 v[0:1], 4, v[4:5]
	s_movk_i32 s4, 0x1000
	v_add_co_u32_e32 v0, vcc, v3, v0
	v_addc_co_u32_e32 v1, vcc, v2, v1, vcc
	v_add_co_u32_e32 v46, vcc, s4, v0
	v_addc_co_u32_e32 v47, vcc, 0, v1, vcc
	v_add_co_u32_e32 v48, vcc, 0x2000, v0
	global_load_dwordx4 v[6:9], v[0:1], off
	global_load_dwordx4 v[10:13], v[0:1], off offset:1008
	global_load_dwordx4 v[14:17], v[0:1], off offset:2016
	;; [unrolled: 1-line block ×3, first 2 shown]
	v_addc_co_u32_e32 v49, vcc, 0, v1, vcc
	global_load_dwordx4 v[22:25], v[0:1], off offset:4032
	global_load_dwordx4 v[26:29], v[46:47], off offset:944
	;; [unrolled: 1-line block ×6, first 2 shown]
	v_lshl_add_u32 v0, v4, 4, 0
	v_cmp_eq_u32_e32 vcc, 62, v4
	s_waitcnt vmcnt(9)
	ds_write_b128 v0, v[6:9]
	s_waitcnt vmcnt(8)
	ds_write_b128 v0, v[10:13] offset:1008
	s_waitcnt vmcnt(7)
	ds_write_b128 v0, v[14:17] offset:2016
	;; [unrolled: 2-line block ×9, first 2 shown]
	v_mov_b32_e32 v0, v4
	v_mov_b32_e32 v1, v5
	s_and_saveexec_b64 s[4:5], vcc
	s_cbranch_execz .LBB0_12
; %bb.11:
	v_add_co_u32_e32 v0, vcc, 0x2000, v3
	v_addc_co_u32_e32 v1, vcc, 0, v2, vcc
	global_load_dwordx4 v[2:5], v[0:1], off offset:1888
	v_mov_b32_e32 v6, 0
	v_mov_b32_e32 v0, 62
	;; [unrolled: 1-line block ×3, first 2 shown]
	s_waitcnt vmcnt(0)
	ds_write_b128 v6, v[2:5] offset:10080
	v_mov_b32_e32 v4, 62
.LBB0_12:
	s_or_b64 exec, exec, s[4:5]
	v_mov_b32_e32 v56, v4
	v_mov_b32_e32 v5, v1
	;; [unrolled: 1-line block ×3, first 2 shown]
.LBB0_13:
	s_or_b64 exec, exec, s[2:3]
	v_lshlrev_b32_e32 v0, 4, v56
	v_add_u32_e32 v64, 0, v0
	s_waitcnt lgkmcnt(0)
	; wave barrier
	s_waitcnt lgkmcnt(0)
	v_sub_u32_e32 v10, 0, v0
	ds_read_b64 v[6:7], v64
	ds_read_b64 v[8:9], v10 offset:10080
	s_add_u32 s4, s8, 0x2730
	v_lshlrev_b64 v[60:61], 4, v[4:5]
	s_addc_u32 s5, s9, 0
	v_cmp_ne_u32_e32 vcc, 0, v56
	s_waitcnt lgkmcnt(0)
	v_add_f64 v[0:1], v[6:7], v[8:9]
	v_add_f64 v[2:3], v[6:7], -v[8:9]
	s_and_saveexec_b64 s[2:3], vcc
	s_xor_b64 s[2:3], exec, s[2:3]
	s_cbranch_execz .LBB0_15
; %bb.14:
	v_mov_b32_e32 v1, s5
	v_add_co_u32_e32 v0, vcc, s4, v60
	v_addc_co_u32_e32 v1, vcc, v1, v61, vcc
	global_load_dwordx4 v[2:5], v[0:1], off
	ds_read_b64 v[0:1], v10 offset:10088
	ds_read_b64 v[11:12], v64 offset:8
	v_add_f64 v[13:14], v[6:7], v[8:9]
	v_add_f64 v[8:9], v[6:7], -v[8:9]
	s_waitcnt lgkmcnt(0)
	v_add_f64 v[15:16], v[0:1], v[11:12]
	v_add_f64 v[0:1], v[11:12], -v[0:1]
	s_waitcnt vmcnt(0)
	v_fma_f64 v[6:7], -v[8:9], v[4:5], v[13:14]
	v_fma_f64 v[11:12], v[15:16], v[4:5], -v[0:1]
	v_fma_f64 v[13:14], v[8:9], v[4:5], v[13:14]
	v_fma_f64 v[17:18], v[15:16], v[4:5], v[0:1]
	v_fma_f64 v[4:5], v[15:16], v[2:3], v[6:7]
	v_fma_f64 v[6:7], v[8:9], v[2:3], v[11:12]
	v_fma_f64 v[0:1], -v[15:16], v[2:3], v[13:14]
	v_fma_f64 v[2:3], v[8:9], v[2:3], v[17:18]
	ds_write_b128 v10, v[4:7] offset:10080
.LBB0_15:
	s_andn2_saveexec_b64 s[2:3], s[2:3]
	s_cbranch_execz .LBB0_17
; %bb.16:
	v_mov_b32_e32 v8, 0
	ds_read_b128 v[4:7], v8 offset:5040
	s_waitcnt lgkmcnt(0)
	v_add_f64 v[4:5], v[4:5], v[4:5]
	v_mul_f64 v[6:7], v[6:7], -2.0
	ds_write_b128 v8, v[4:7] offset:5040
.LBB0_17:
	s_or_b64 exec, exec, s[2:3]
	v_mov_b32_e32 v57, 0
	v_lshlrev_b64 v[62:63], 4, v[56:57]
	v_mov_b32_e32 v4, s5
	v_add_co_u32_e32 v23, vcc, s4, v62
	v_addc_co_u32_e32 v24, vcc, v4, v63, vcc
	global_load_dwordx4 v[4:7], v[23:24], off offset:1008
	global_load_dwordx4 v[11:14], v[23:24], off offset:2016
	ds_write_b128 v64, v[0:3]
	ds_read_b128 v[0:3], v64 offset:1008
	ds_read_b128 v[15:18], v10 offset:9072
	global_load_dwordx4 v[19:22], v[23:24], off offset:3024
	s_mov_b32 s2, 0xe8584caa
	s_mov_b32 s3, 0x3febb67a
	;; [unrolled: 1-line block ×3, first 2 shown]
	s_waitcnt lgkmcnt(0)
	v_add_f64 v[8:9], v[0:1], v[15:16]
	v_add_f64 v[25:26], v[17:18], v[2:3]
	v_add_f64 v[15:16], v[0:1], -v[15:16]
	v_add_f64 v[0:1], v[2:3], -v[17:18]
	s_mov_b32 s4, s2
	v_cmp_gt_u32_e32 vcc, 21, v56
	s_waitcnt vmcnt(2)
	v_fma_f64 v[2:3], v[15:16], v[6:7], v[8:9]
	v_fma_f64 v[17:18], v[25:26], v[6:7], v[0:1]
	v_fma_f64 v[8:9], -v[15:16], v[6:7], v[8:9]
	v_fma_f64 v[27:28], v[25:26], v[6:7], -v[0:1]
	v_fma_f64 v[0:1], -v[25:26], v[4:5], v[2:3]
	v_fma_f64 v[2:3], v[15:16], v[4:5], v[17:18]
	v_fma_f64 v[6:7], v[25:26], v[4:5], v[8:9]
	;; [unrolled: 1-line block ×3, first 2 shown]
	ds_write_b128 v64, v[0:3] offset:1008
	ds_write_b128 v10, v[6:9] offset:9072
	ds_read_b128 v[0:3], v64 offset:2016
	ds_read_b128 v[4:7], v10 offset:8064
	global_load_dwordx4 v[15:18], v[23:24], off offset:4032
	s_waitcnt lgkmcnt(0)
	v_add_f64 v[8:9], v[0:1], v[4:5]
	v_add_f64 v[23:24], v[6:7], v[2:3]
	v_add_f64 v[25:26], v[0:1], -v[4:5]
	v_add_f64 v[0:1], v[2:3], -v[6:7]
	s_waitcnt vmcnt(2)
	v_fma_f64 v[2:3], v[25:26], v[13:14], v[8:9]
	v_fma_f64 v[4:5], v[23:24], v[13:14], v[0:1]
	v_fma_f64 v[6:7], -v[25:26], v[13:14], v[8:9]
	v_fma_f64 v[8:9], v[23:24], v[13:14], -v[0:1]
	v_fma_f64 v[0:1], -v[23:24], v[11:12], v[2:3]
	v_fma_f64 v[2:3], v[25:26], v[11:12], v[4:5]
	v_fma_f64 v[4:5], v[23:24], v[11:12], v[6:7]
	;; [unrolled: 1-line block ×3, first 2 shown]
	ds_write_b128 v64, v[0:3] offset:2016
	ds_write_b128 v10, v[4:7] offset:8064
	ds_read_b128 v[0:3], v64 offset:3024
	ds_read_b128 v[4:7], v10 offset:7056
	s_waitcnt lgkmcnt(0)
	v_add_f64 v[8:9], v[0:1], v[4:5]
	v_add_f64 v[11:12], v[6:7], v[2:3]
	v_add_f64 v[13:14], v[0:1], -v[4:5]
	v_add_f64 v[0:1], v[2:3], -v[6:7]
	s_waitcnt vmcnt(1)
	v_fma_f64 v[2:3], v[13:14], v[21:22], v[8:9]
	v_fma_f64 v[4:5], v[11:12], v[21:22], v[0:1]
	v_fma_f64 v[6:7], -v[13:14], v[21:22], v[8:9]
	v_fma_f64 v[8:9], v[11:12], v[21:22], -v[0:1]
	v_fma_f64 v[0:1], -v[11:12], v[19:20], v[2:3]
	v_fma_f64 v[2:3], v[13:14], v[19:20], v[4:5]
	v_fma_f64 v[4:5], v[11:12], v[19:20], v[6:7]
	;; [unrolled: 1-line block ×3, first 2 shown]
	ds_write_b128 v64, v[0:3] offset:3024
	ds_write_b128 v10, v[4:7] offset:7056
	ds_read_b128 v[0:3], v64 offset:4032
	ds_read_b128 v[4:7], v10 offset:6048
	s_waitcnt lgkmcnt(0)
	v_add_f64 v[8:9], v[0:1], v[4:5]
	v_add_f64 v[11:12], v[6:7], v[2:3]
	v_add_f64 v[13:14], v[0:1], -v[4:5]
	v_add_f64 v[0:1], v[2:3], -v[6:7]
	s_waitcnt vmcnt(0)
	v_fma_f64 v[2:3], v[13:14], v[17:18], v[8:9]
	v_fma_f64 v[4:5], v[11:12], v[17:18], v[0:1]
	v_fma_f64 v[6:7], -v[13:14], v[17:18], v[8:9]
	v_fma_f64 v[8:9], v[11:12], v[17:18], -v[0:1]
	v_lshlrev_b32_e32 v0, 5, v56
	v_add_u32_e32 v0, v64, v0
	v_fma_f64 v[1:2], -v[11:12], v[15:16], v[2:3]
	v_fma_f64 v[3:4], v[13:14], v[15:16], v[4:5]
	v_fma_f64 v[5:6], v[11:12], v[15:16], v[6:7]
	;; [unrolled: 1-line block ×3, first 2 shown]
	ds_write_b128 v64, v[1:4] offset:4032
	ds_write_b128 v10, v[5:8] offset:6048
	s_waitcnt lgkmcnt(0)
	; wave barrier
	s_waitcnt lgkmcnt(0)
	s_waitcnt lgkmcnt(0)
	; wave barrier
	s_waitcnt lgkmcnt(0)
	ds_read_b128 v[1:4], v64
	ds_read_b128 v[5:8], v64 offset:1008
	ds_read_b128 v[9:12], v64 offset:3360
	;; [unrolled: 1-line block ×11, first 2 shown]
	s_waitcnt lgkmcnt(9)
	v_add_f64 v[49:50], v[1:2], v[9:10]
	s_waitcnt lgkmcnt(7)
	v_add_f64 v[51:52], v[9:10], v[17:18]
	v_add_f64 v[65:66], v[3:4], v[11:12]
	;; [unrolled: 1-line block ×3, first 2 shown]
	v_add_f64 v[69:70], v[9:10], -v[17:18]
	v_add_f64 v[9:10], v[5:6], v[13:14]
	v_add_f64 v[75:76], v[7:8], v[15:16]
	s_waitcnt lgkmcnt(6)
	v_add_f64 v[77:78], v[15:16], v[23:24]
	s_waitcnt lgkmcnt(1)
	;; [unrolled: 2-line block ×3, first 2 shown]
	v_add_f64 v[95:96], v[37:38], v[45:46]
	v_add_f64 v[97:98], v[39:40], -v[47:48]
	v_add_f64 v[99:100], v[31:32], v[39:40]
	v_add_f64 v[39:40], v[39:40], v[47:48]
	;; [unrolled: 1-line block ×4, first 2 shown]
	v_add_f64 v[53:54], v[11:12], -v[19:20]
	v_add_f64 v[73:74], v[15:16], -v[23:24]
	;; [unrolled: 1-line block ×4, first 2 shown]
	v_add_f64 v[87:88], v[27:28], v[35:36]
	v_add_f64 v[93:94], v[29:30], v[37:38]
	v_add_f64 v[101:102], v[37:38], -v[45:46]
	v_add_f64 v[12:13], v[49:50], v[17:18]
	v_fma_f64 v[16:17], v[51:52], -0.5, v[1:2]
	v_add_f64 v[14:15], v[65:66], v[19:20]
	v_fma_f64 v[18:19], v[67:68], -0.5, v[3:4]
	v_add_f64 v[1:2], v[9:10], v[21:22]
	v_add_f64 v[3:4], v[75:76], v[23:24]
	v_fma_f64 v[20:21], v[77:78], -0.5, v[7:8]
	v_fma_f64 v[22:23], v[83:84], -0.5, v[25:26]
	v_fma_f64 v[65:66], v[95:96], -0.5, v[29:30]
	v_fma_f64 v[67:68], v[39:40], -0.5, v[31:32]
	v_add_f64 v[81:82], v[25:26], v[33:34]
	v_fma_f64 v[5:6], v[71:72], -0.5, v[5:6]
	v_add_f64 v[91:92], v[33:34], -v[41:42]
	v_fma_f64 v[51:52], v[89:90], -0.5, v[27:28]
	v_add_f64 v[35:36], v[87:88], v[43:44]
	v_add_f64 v[8:9], v[93:94], v[45:46]
	;; [unrolled: 1-line block ×3, first 2 shown]
	v_fma_f64 v[24:25], v[53:54], s[2:3], v[16:17]
	v_fma_f64 v[28:29], v[53:54], s[4:5], v[16:17]
	;; [unrolled: 1-line block ×12, first 2 shown]
	v_add_f64 v[33:34], v[81:82], v[41:42]
	v_fma_f64 v[37:38], v[73:74], s[2:3], v[5:6]
	v_fma_f64 v[41:42], v[73:74], s[4:5], v[5:6]
	;; [unrolled: 1-line block ×3, first 2 shown]
	s_waitcnt lgkmcnt(0)
	; wave barrier
	v_fma_f64 v[51:52], v[91:92], s[2:3], v[51:52]
	ds_write_b128 v0, v[12:15]
	ds_write_b128 v0, v[1:4] offset:3024
	ds_write_b128 v0, v[33:36] offset:6048
	;; [unrolled: 1-line block ×8, first 2 shown]
	s_and_saveexec_b64 s[2:3], vcc
	s_cbranch_execz .LBB0_19
; %bb.18:
	ds_write_b128 v0, v[8:11] offset:9072
	ds_write_b128 v0, v[16:19] offset:9088
	;; [unrolled: 1-line block ×3, first 2 shown]
.LBB0_19:
	s_or_b64 exec, exec, s[2:3]
	s_waitcnt lgkmcnt(0)
	; wave barrier
	s_waitcnt lgkmcnt(0)
	ds_read_b128 v[4:7], v64
	ds_read_b128 v[0:3], v64 offset:1008
	ds_read_b128 v[32:35], v64 offset:6720
	;; [unrolled: 1-line block ×8, first 2 shown]
	s_and_saveexec_b64 s[2:3], vcc
	s_cbranch_execz .LBB0_21
; %bb.20:
	ds_read_b128 v[8:11], v64 offset:3024
	ds_read_b128 v[16:19], v64 offset:6384
	;; [unrolled: 1-line block ×3, first 2 shown]
.LBB0_21:
	s_or_b64 exec, exec, s[2:3]
	s_movk_i32 s2, 0xab
	v_mul_lo_u16_sdwa v48, v56, s2 dst_sel:DWORD dst_unused:UNUSED_PAD src0_sel:BYTE_0 src1_sel:DWORD
	v_lshrrev_b16_e32 v107, 9, v48
	v_mul_lo_u16_e32 v48, 3, v107
	v_sub_u16_e32 v108, v56, v48
	v_mov_b32_e32 v54, 5
	v_lshlrev_b32_sdwa v48, v54, v108 dst_sel:DWORD dst_unused:UNUSED_PAD src0_sel:DWORD src1_sel:BYTE_0
	v_add_u16_e32 v57, 63, v56
	global_load_dwordx4 v[50:53], v48, s[8:9]
	global_load_dwordx4 v[65:68], v48, s[8:9] offset:16
	v_mul_lo_u16_sdwa v48, v57, s2 dst_sel:DWORD dst_unused:UNUSED_PAD src0_sel:BYTE_0 src1_sel:DWORD
	v_lshrrev_b16_e32 v109, 9, v48
	v_mul_lo_u16_e32 v48, 3, v109
	v_sub_u16_e32 v110, v57, v48
	v_lshlrev_b32_sdwa v48, v54, v110 dst_sel:DWORD dst_unused:UNUSED_PAD src0_sel:DWORD src1_sel:BYTE_0
	global_load_dwordx4 v[69:72], v48, s[8:9]
	global_load_dwordx4 v[73:76], v48, s[8:9] offset:16
	v_add_u16_e32 v48, 0x7e, v56
	v_mul_lo_u16_sdwa v49, v48, s2 dst_sel:DWORD dst_unused:UNUSED_PAD src0_sel:BYTE_0 src1_sel:DWORD
	v_lshrrev_b16_e32 v111, 9, v49
	v_mul_lo_u16_e32 v49, 3, v111
	v_sub_u16_e32 v112, v48, v49
	v_lshlrev_b32_sdwa v48, v54, v112 dst_sel:DWORD dst_unused:UNUSED_PAD src0_sel:DWORD src1_sel:BYTE_0
	v_add_u16_e32 v49, 0xbd, v56
	global_load_dwordx4 v[77:80], v48, s[8:9]
	global_load_dwordx4 v[81:84], v48, s[8:9] offset:16
	v_mul_lo_u16_sdwa v48, v49, s2 dst_sel:DWORD dst_unused:UNUSED_PAD src0_sel:BYTE_0 src1_sel:DWORD
	v_lshrrev_b16_e32 v48, 9, v48
	v_mul_lo_u16_e32 v55, 3, v48
	v_sub_u16_e32 v49, v49, v55
	v_lshlrev_b32_sdwa v54, v54, v49 dst_sel:DWORD dst_unused:UNUSED_PAD src0_sel:DWORD src1_sel:BYTE_0
	global_load_dwordx4 v[85:88], v54, s[8:9]
	global_load_dwordx4 v[89:92], v54, s[8:9] offset:16
	s_mov_b32 s2, 0xe8584caa
	s_mov_b32 s3, 0x3febb67a
	;; [unrolled: 1-line block ×3, first 2 shown]
	s_waitcnt lgkmcnt(0)
	; wave barrier
	s_waitcnt vmcnt(7) lgkmcnt(0)
	v_mul_f64 v[54:55], v[46:47], v[52:53]
	v_mul_f64 v[52:53], v[44:45], v[52:53]
	s_waitcnt vmcnt(6)
	v_mul_f64 v[93:94], v[34:35], v[67:68]
	v_mul_f64 v[67:68], v[32:33], v[67:68]
	s_waitcnt vmcnt(5)
	;; [unrolled: 3-line block ×3, first 2 shown]
	v_mul_f64 v[97:98], v[26:27], v[75:76]
	v_mul_f64 v[75:76], v[24:25], v[75:76]
	v_fma_f64 v[44:45], v[44:45], v[50:51], -v[54:55]
	v_fma_f64 v[46:47], v[46:47], v[50:51], v[52:53]
	v_fma_f64 v[32:33], v[32:33], v[65:66], -v[93:94]
	v_fma_f64 v[34:35], v[34:35], v[65:66], v[67:68]
	s_waitcnt vmcnt(3)
	v_mul_f64 v[99:100], v[38:39], v[79:80]
	v_mul_f64 v[79:80], v[36:37], v[79:80]
	s_waitcnt vmcnt(2)
	v_mul_f64 v[101:102], v[30:31], v[83:84]
	v_mul_f64 v[83:84], v[28:29], v[83:84]
	v_fma_f64 v[40:41], v[40:41], v[69:70], -v[95:96]
	v_fma_f64 v[42:43], v[42:43], v[69:70], v[71:72]
	s_waitcnt vmcnt(1)
	v_mul_f64 v[103:104], v[18:19], v[87:88]
	v_mul_f64 v[87:88], v[16:17], v[87:88]
	s_waitcnt vmcnt(0)
	v_mul_f64 v[105:106], v[22:23], v[91:92]
	v_mul_f64 v[91:92], v[20:21], v[91:92]
	v_fma_f64 v[50:51], v[24:25], v[73:74], -v[97:98]
	v_fma_f64 v[52:53], v[26:27], v[73:74], v[75:76]
	v_fma_f64 v[26:27], v[36:37], v[77:78], -v[99:100]
	v_fma_f64 v[36:37], v[38:39], v[77:78], v[79:80]
	v_fma_f64 v[54:55], v[30:31], v[81:82], v[83:84]
	v_fma_f64 v[16:17], v[16:17], v[85:86], -v[103:104]
	v_fma_f64 v[24:25], v[18:19], v[85:86], v[87:88]
	v_fma_f64 v[18:19], v[20:21], v[89:90], -v[105:106]
	;; [unrolled: 2-line block ×3, first 2 shown]
	v_add_f64 v[22:23], v[44:45], v[32:33]
	v_add_f64 v[28:29], v[46:47], v[34:35]
	;; [unrolled: 1-line block ×8, first 2 shown]
	v_add_f64 v[75:76], v[42:43], -v[52:53]
	v_add_f64 v[42:43], v[36:37], v[54:55]
	v_add_f64 v[79:80], v[14:15], v[36:37]
	v_add_f64 v[83:84], v[36:37], -v[54:55]
	v_add_f64 v[36:37], v[16:17], v[18:19]
	v_add_f64 v[87:88], v[24:25], v[20:21]
	v_add_f64 v[77:78], v[40:41], -v[50:51]
	v_add_f64 v[40:41], v[26:27], v[38:39]
	v_add_f64 v[46:47], v[46:47], -v[34:35]
	v_add_f64 v[44:45], v[44:45], -v[32:33]
	v_fma_f64 v[4:5], v[22:23], -0.5, v[4:5]
	v_fma_f64 v[6:7], v[28:29], -0.5, v[6:7]
	v_add_f64 v[81:82], v[12:13], v[26:27]
	v_fma_f64 v[0:1], v[67:68], -0.5, v[0:1]
	v_fma_f64 v[2:3], v[69:70], -0.5, v[2:3]
	v_add_f64 v[85:86], v[26:27], -v[38:39]
	v_add_f64 v[89:90], v[24:25], -v[20:21]
	;; [unrolled: 1-line block ×3, first 2 shown]
	v_add_f64 v[28:29], v[30:31], v[34:35]
	v_add_f64 v[26:27], v[65:66], v[32:33]
	;; [unrolled: 1-line block ×4, first 2 shown]
	v_fma_f64 v[71:72], v[42:43], -0.5, v[14:15]
	v_add_f64 v[14:15], v[79:80], v[54:55]
	v_fma_f64 v[54:55], v[36:37], -0.5, v[8:9]
	v_fma_f64 v[73:74], v[87:88], -0.5, v[10:11]
	;; [unrolled: 1-line block ×3, first 2 shown]
	v_fma_f64 v[34:35], v[46:47], s[2:3], v[4:5]
	v_fma_f64 v[36:37], v[44:45], s[4:5], v[6:7]
	v_add_f64 v[12:13], v[81:82], v[38:39]
	v_fma_f64 v[38:39], v[46:47], s[4:5], v[4:5]
	v_fma_f64 v[40:41], v[44:45], s[2:3], v[6:7]
	;; [unrolled: 1-line block ×13, first 2 shown]
	v_mov_b32_e32 v22, 4
	v_fma_f64 v[71:72], v[85:86], s[2:3], v[71:72]
	v_mul_u32_u24_e32 v23, 0x90, v107
	v_lshlrev_b32_sdwa v46, v22, v108 dst_sel:DWORD dst_unused:UNUSED_PAD src0_sel:DWORD src1_sel:BYTE_0
	v_add3_u32 v23, 0, v23, v46
	ds_write_b128 v23, v[26:29]
	ds_write_b128 v23, v[34:37] offset:48
	ds_write_b128 v23, v[38:41] offset:96
	v_mul_u32_u24_e32 v23, 0x90, v109
	v_lshlrev_b32_sdwa v26, v22, v110 dst_sel:DWORD dst_unused:UNUSED_PAD src0_sel:DWORD src1_sel:BYTE_0
	v_add3_u32 v23, 0, v23, v26
	ds_write_b128 v23, v[30:33]
	ds_write_b128 v23, v[42:45] offset:48
	ds_write_b128 v23, v[50:53] offset:96
	;; [unrolled: 6-line block ×3, first 2 shown]
	s_and_saveexec_b64 s[2:3], vcc
	s_cbranch_execz .LBB0_23
; %bb.22:
	v_add_f64 v[10:11], v[10:11], v[24:25]
	v_add_f64 v[8:9], v[8:9], v[16:17]
	v_mul_u32_u24_e32 v12, 0x90, v48
	v_lshlrev_b32_sdwa v13, v22, v49 dst_sel:DWORD dst_unused:UNUSED_PAD src0_sel:DWORD src1_sel:BYTE_0
	v_add3_u32 v12, 0, v12, v13
	v_add_f64 v[10:11], v[10:11], v[20:21]
	v_add_f64 v[8:9], v[8:9], v[18:19]
	ds_write_b128 v12, v[0:3] offset:48
	ds_write_b128 v12, v[8:11]
	ds_write_b128 v12, v[4:7] offset:96
.LBB0_23:
	s_or_b64 exec, exec, s[2:3]
	v_mov_b32_e32 v8, 57
	v_mul_lo_u16_sdwa v9, v56, v8 dst_sel:DWORD dst_unused:UNUSED_PAD src0_sel:BYTE_0 src1_sel:DWORD
	v_lshrrev_b16_e32 v20, 9, v9
	v_mul_lo_u16_e32 v9, 9, v20
	v_sub_u16_e32 v21, v56, v9
	v_mov_b32_e32 v9, 6
	v_lshlrev_b32_sdwa v10, v9, v21 dst_sel:DWORD dst_unused:UNUSED_PAD src0_sel:DWORD src1_sel:BYTE_0
	s_waitcnt lgkmcnt(0)
	; wave barrier
	s_waitcnt lgkmcnt(0)
	global_load_dwordx4 v[12:15], v10, s[8:9] offset:112
	global_load_dwordx4 v[16:19], v10, s[8:9] offset:96
	;; [unrolled: 1-line block ×4, first 2 shown]
	v_mul_lo_u16_sdwa v8, v57, v8 dst_sel:DWORD dst_unused:UNUSED_PAD src0_sel:BYTE_0 src1_sel:DWORD
	v_lshrrev_b16_e32 v23, 9, v8
	v_mul_lo_u16_e32 v8, 9, v23
	v_sub_u16_e32 v24, v57, v8
	v_lshlrev_b32_sdwa v8, v9, v24 dst_sel:DWORD dst_unused:UNUSED_PAD src0_sel:DWORD src1_sel:BYTE_0
	global_load_dwordx4 v[33:36], v8, s[8:9] offset:96
	global_load_dwordx4 v[37:40], v8, s[8:9] offset:112
	;; [unrolled: 1-line block ×4, first 2 shown]
	ds_read_b128 v[49:52], v64
	ds_read_b128 v[8:11], v64 offset:1008
	ds_read_b128 v[65:68], v64 offset:2016
	;; [unrolled: 1-line block ×9, first 2 shown]
	s_mov_b32 s6, 0x134454ff
	s_mov_b32 s7, 0x3fee6f0e
	;; [unrolled: 1-line block ×10, first 2 shown]
	v_mul_u32_u24_e32 v20, 0x2d0, v20
	v_lshlrev_b32_sdwa v21, v22, v21 dst_sel:DWORD dst_unused:UNUSED_PAD src0_sel:DWORD src1_sel:BYTE_0
	v_add3_u32 v20, 0, v20, v21
	s_waitcnt lgkmcnt(0)
	; wave barrier
	s_waitcnt lgkmcnt(0)
	v_lshlrev_b32_sdwa v21, v22, v24 dst_sel:DWORD dst_unused:UNUSED_PAD src0_sel:DWORD src1_sel:BYTE_0
	v_cmp_gt_u32_e32 vcc, 27, v56
	s_waitcnt vmcnt(7)
	v_mul_f64 v[97:98], v[75:76], v[14:15]
	s_waitcnt vmcnt(6)
	v_mul_f64 v[53:54], v[67:68], v[18:19]
	v_mul_f64 v[18:19], v[65:66], v[18:19]
	;; [unrolled: 1-line block ×3, first 2 shown]
	s_waitcnt vmcnt(4)
	v_mul_f64 v[99:100], v[83:84], v[31:32]
	v_mul_f64 v[31:32], v[81:82], v[31:32]
	;; [unrolled: 1-line block ×4, first 2 shown]
	s_waitcnt vmcnt(3)
	v_mul_f64 v[103:104], v[71:72], v[35:36]
	v_mul_f64 v[35:36], v[69:70], v[35:36]
	v_fma_f64 v[53:54], v[65:66], v[16:17], -v[53:54]
	v_fma_f64 v[16:17], v[67:68], v[16:17], v[18:19]
	v_fma_f64 v[18:19], v[73:74], v[12:13], -v[97:98]
	v_fma_f64 v[12:13], v[75:76], v[12:13], v[14:15]
	v_fma_f64 v[14:15], v[81:82], v[29:30], -v[99:100]
	s_waitcnt vmcnt(2)
	v_mul_f64 v[105:106], v[79:80], v[39:40]
	v_mul_f64 v[39:40], v[77:78], v[39:40]
	s_waitcnt vmcnt(1)
	v_mul_f64 v[107:108], v[87:88], v[43:44]
	v_mul_f64 v[43:44], v[85:86], v[43:44]
	v_fma_f64 v[29:30], v[83:84], v[29:30], v[31:32]
	v_fma_f64 v[31:32], v[89:90], v[25:26], -v[101:102]
	s_waitcnt vmcnt(0)
	v_mul_f64 v[109:110], v[95:96], v[47:48]
	v_mul_f64 v[47:48], v[93:94], v[47:48]
	v_fma_f64 v[27:28], v[91:92], v[25:26], v[27:28]
	v_fma_f64 v[65:66], v[69:70], v[33:34], -v[103:104]
	v_fma_f64 v[67:68], v[71:72], v[33:34], v[35:36]
	v_add_f64 v[25:26], v[49:50], v[53:54]
	v_add_f64 v[33:34], v[18:19], v[14:15]
	v_fma_f64 v[71:72], v[79:80], v[37:38], v[39:40]
	v_fma_f64 v[73:74], v[85:86], v[41:42], -v[107:108]
	v_fma_f64 v[75:76], v[87:88], v[41:42], v[43:44]
	v_add_f64 v[39:40], v[53:54], -v[18:19]
	v_add_f64 v[41:42], v[31:32], -v[14:15]
	v_add_f64 v[43:44], v[53:54], v[31:32]
	v_add_f64 v[81:82], v[51:52], v[16:17]
	;; [unrolled: 1-line block ×3, first 2 shown]
	v_fma_f64 v[69:70], v[77:78], v[37:38], -v[105:106]
	v_fma_f64 v[77:78], v[93:94], v[45:46], -v[109:110]
	v_fma_f64 v[47:48], v[95:96], v[45:46], v[47:48]
	v_add_f64 v[35:36], v[16:17], -v[27:28]
	v_add_f64 v[45:46], v[18:19], -v[53:54]
	;; [unrolled: 1-line block ×3, first 2 shown]
	v_add_f64 v[91:92], v[16:17], v[27:28]
	v_add_f64 v[18:19], v[25:26], v[18:19]
	v_fma_f64 v[25:26], v[33:34], -0.5, v[49:50]
	v_add_f64 v[37:38], v[12:13], -v[29:30]
	v_add_f64 v[53:54], v[53:54], -v[31:32]
	;; [unrolled: 1-line block ×4, first 2 shown]
	v_add_f64 v[33:34], v[39:40], v[41:42]
	v_fma_f64 v[39:40], v[43:44], -0.5, v[49:50]
	v_add_f64 v[12:13], v[81:82], v[12:13]
	v_fma_f64 v[43:44], v[83:84], -0.5, v[51:52]
	v_add_f64 v[79:80], v[14:15], -v[31:32]
	v_add_f64 v[89:90], v[27:28], -v[29:30]
	v_fma_f64 v[49:50], v[91:92], -0.5, v[51:52]
	v_add_f64 v[14:15], v[18:19], v[14:15]
	v_fma_f64 v[18:19], v[35:36], s[6:7], v[25:26]
	v_add_f64 v[93:94], v[29:30], -v[27:28]
	v_add_f64 v[95:96], v[8:9], v[65:66]
	v_fma_f64 v[81:82], v[35:36], s[10:11], v[25:26]
	v_fma_f64 v[83:84], v[37:38], s[10:11], v[39:40]
	v_add_f64 v[12:13], v[12:13], v[29:30]
	v_fma_f64 v[29:30], v[53:54], s[10:11], v[43:44]
	v_add_f64 v[97:98], v[69:70], v[73:74]
	v_add_f64 v[107:108], v[65:66], v[77:78]
	;; [unrolled: 1-line block ×4, first 2 shown]
	v_fma_f64 v[39:40], v[37:38], s[6:7], v[39:40]
	v_fma_f64 v[43:44], v[53:54], s[6:7], v[43:44]
	;; [unrolled: 1-line block ×4, first 2 shown]
	v_add_f64 v[25:26], v[14:15], v[31:32]
	v_fma_f64 v[14:15], v[37:38], s[2:3], v[18:19]
	v_add_f64 v[51:52], v[95:96], v[69:70]
	v_fma_f64 v[18:19], v[37:38], s[14:15], v[81:82]
	v_fma_f64 v[31:32], v[35:36], s[2:3], v[83:84]
	v_add_f64 v[27:28], v[12:13], v[27:28]
	v_fma_f64 v[12:13], v[85:86], s[14:15], v[29:30]
	v_add_f64 v[101:102], v[71:72], -v[75:76]
	v_add_f64 v[16:17], v[16:17], v[93:94]
	v_fma_f64 v[79:80], v[97:98], -0.5, v[8:9]
	v_fma_f64 v[35:36], v[35:36], s[14:15], v[39:40]
	v_fma_f64 v[39:40], v[85:86], s[2:3], v[43:44]
	;; [unrolled: 1-line block ×5, first 2 shown]
	v_fma_f64 v[8:9], v[107:108], -0.5, v[8:9]
	v_add_f64 v[99:100], v[67:68], -v[47:48]
	v_fma_f64 v[33:34], v[33:34], s[4:5], v[18:19]
	v_fma_f64 v[37:38], v[41:42], s[4:5], v[31:32]
	v_add_f64 v[18:19], v[51:52], v[73:74]
	v_fma_f64 v[31:32], v[45:46], s[4:5], v[12:13]
	v_add_f64 v[12:13], v[71:72], v[75:76]
	v_fma_f64 v[41:42], v[41:42], s[4:5], v[35:36]
	v_fma_f64 v[35:36], v[45:46], s[4:5], v[39:40]
	;; [unrolled: 1-line block ×5, first 2 shown]
	v_add_f64 v[53:54], v[67:68], v[47:48]
	v_add_f64 v[81:82], v[10:11], v[67:68]
	v_add_f64 v[103:104], v[65:66], -v[69:70]
	v_fma_f64 v[89:90], v[99:100], s[6:7], v[79:80]
	v_add_f64 v[45:46], v[18:19], v[77:78]
	v_fma_f64 v[14:15], v[99:100], s[10:11], v[79:80]
	v_add_f64 v[18:19], v[69:70], -v[65:66]
	v_add_f64 v[79:80], v[73:74], -v[77:78]
	v_fma_f64 v[12:13], v[12:13], -0.5, v[10:11]
	v_add_f64 v[65:66], v[65:66], -v[77:78]
	v_add_f64 v[105:106], v[77:78], -v[73:74]
	v_fma_f64 v[77:78], v[99:100], s[2:3], v[16:17]
	v_add_f64 v[16:17], v[69:70], -v[73:74]
	v_fma_f64 v[10:11], v[53:54], -0.5, v[10:11]
	v_add_f64 v[53:54], v[81:82], v[71:72]
	v_add_f64 v[18:19], v[18:19], v[79:80]
	v_add_f64 v[73:74], v[67:68], -v[71:72]
	v_fma_f64 v[69:70], v[65:66], s[10:11], v[12:13]
	v_add_f64 v[79:80], v[47:48], -v[75:76]
	v_add_f64 v[67:68], v[71:72], -v[67:68]
	;; [unrolled: 1-line block ×3, first 2 shown]
	v_fma_f64 v[81:82], v[16:17], s[6:7], v[10:11]
	v_fma_f64 v[8:9], v[101:102], s[6:7], v[8:9]
	v_fma_f64 v[10:11], v[16:17], s[10:11], v[10:11]
	v_fma_f64 v[12:13], v[65:66], s[6:7], v[12:13]
	v_add_f64 v[53:54], v[53:54], v[75:76]
	v_fma_f64 v[49:50], v[101:102], s[2:3], v[89:90]
	v_add_f64 v[51:52], v[103:104], v[105:106]
	v_fma_f64 v[14:15], v[101:102], s[14:15], v[14:15]
	v_fma_f64 v[69:70], v[16:17], s[14:15], v[69:70]
	v_add_f64 v[73:74], v[73:74], v[79:80]
	v_fma_f64 v[79:80], v[65:66], s[14:15], v[81:82]
	v_add_f64 v[67:68], v[67:68], v[71:72]
	v_fma_f64 v[83:84], v[99:100], s[14:15], v[8:9]
	v_fma_f64 v[65:66], v[65:66], s[2:3], v[10:11]
	;; [unrolled: 1-line block ×3, first 2 shown]
	v_add_f64 v[47:48], v[53:54], v[47:48]
	v_fma_f64 v[49:50], v[51:52], s[4:5], v[49:50]
	v_fma_f64 v[16:17], v[51:52], s[4:5], v[14:15]
	;; [unrolled: 1-line block ×8, first 2 shown]
	ds_write_b128 v20, v[25:28]
	ds_write_b128 v20, v[29:32] offset:144
	ds_write_b128 v20, v[37:40] offset:288
	;; [unrolled: 1-line block ×4, first 2 shown]
	v_mul_u32_u24_e32 v20, 0x2d0, v23
	v_add3_u32 v20, 0, v20, v21
	ds_write_b128 v20, v[45:48]
	ds_write_b128 v20, v[49:52] offset:144
	ds_write_b128 v20, v[8:11] offset:288
	;; [unrolled: 1-line block ×4, first 2 shown]
	s_waitcnt lgkmcnt(0)
	; wave barrier
	s_waitcnt lgkmcnt(0)
	ds_read_b128 v[28:31], v64
	ds_read_b128 v[48:51], v64 offset:1440
	ds_read_b128 v[44:47], v64 offset:2880
	;; [unrolled: 1-line block ×6, first 2 shown]
                                        ; implicit-def: $vgpr26_vgpr27
                                        ; implicit-def: $vgpr22_vgpr23
	s_and_saveexec_b64 s[2:3], vcc
	s_cbranch_execz .LBB0_25
; %bb.24:
	ds_read_b128 v[8:11], v64 offset:1008
	ds_read_b128 v[12:15], v64 offset:2448
	ds_read_b128 v[16:19], v64 offset:3888
	ds_read_b128 v[0:3], v64 offset:5328
	ds_read_b128 v[4:7], v64 offset:6768
	ds_read_b128 v[20:23], v64 offset:8208
	ds_read_b128 v[24:27], v64 offset:9648
.LBB0_25:
	s_or_b64 exec, exec, s[2:3]
	v_subrev_u32_e32 v65, 45, v56
	v_cmp_gt_u32_e64 s[2:3], 45, v56
	v_cndmask_b32_e64 v91, v65, v56, s[2:3]
	v_mul_i32_i24_e32 v65, 6, v91
	v_mov_b32_e32 v66, 0
	v_lshlrev_b64 v[65:66], 4, v[65:66]
	v_mov_b32_e32 v67, s9
	v_add_co_u32_e64 v89, s[2:3], s8, v65
	v_addc_co_u32_e64 v90, s[2:3], v67, v66, s[2:3]
	global_load_dwordx4 v[65:68], v[89:90], off offset:672
	global_load_dwordx4 v[69:72], v[89:90], off offset:688
	;; [unrolled: 1-line block ×6, first 2 shown]
	v_mov_b32_e32 v89, 0x13b0
	v_cmp_lt_u32_e64 s[2:3], 44, v56
	v_cndmask_b32_e64 v101, 0, v89, s[2:3]
	v_lshlrev_b32_e32 v102, 4, v91
	s_mov_b32 s10, 0x37e14327
	s_mov_b32 s14, 0x36b3c0b5
	;; [unrolled: 1-line block ×20, first 2 shown]
	s_waitcnt lgkmcnt(0)
	; wave barrier
	s_waitcnt vmcnt(5) lgkmcnt(0)
	v_mul_f64 v[89:90], v[50:51], v[67:68]
	v_mul_f64 v[67:68], v[48:49], v[67:68]
	s_waitcnt vmcnt(4)
	v_mul_f64 v[91:92], v[46:47], v[71:72]
	v_mul_f64 v[71:72], v[44:45], v[71:72]
	s_waitcnt vmcnt(2)
	;; [unrolled: 3-line block ×3, first 2 shown]
	v_mul_f64 v[99:100], v[42:43], v[87:88]
	v_mul_f64 v[87:88], v[40:41], v[87:88]
	;; [unrolled: 1-line block ×6, first 2 shown]
	v_fma_f64 v[48:49], v[48:49], v[65:66], -v[89:90]
	v_fma_f64 v[50:51], v[50:51], v[65:66], v[67:68]
	v_fma_f64 v[44:45], v[44:45], v[69:70], -v[91:92]
	v_fma_f64 v[46:47], v[46:47], v[69:70], v[71:72]
	;; [unrolled: 2-line block ×6, first 2 shown]
	v_add_f64 v[65:66], v[48:49], v[52:53]
	v_add_f64 v[67:68], v[50:51], v[54:55]
	v_add_f64 v[48:49], v[48:49], -v[52:53]
	v_add_f64 v[50:51], v[50:51], -v[54:55]
	v_add_f64 v[52:53], v[44:45], v[40:41]
	v_add_f64 v[54:55], v[46:47], v[42:43]
	v_add_f64 v[40:41], v[44:45], -v[40:41]
	v_add_f64 v[42:43], v[46:47], -v[42:43]
	;; [unrolled: 4-line block ×4, first 2 shown]
	v_add_f64 v[65:66], v[65:66], -v[44:45]
	v_add_f64 v[67:68], v[67:68], -v[46:47]
	;; [unrolled: 1-line block ×4, first 2 shown]
	v_add_f64 v[73:74], v[32:33], v[40:41]
	v_add_f64 v[75:76], v[34:35], v[42:43]
	v_add_f64 v[77:78], v[32:33], -v[40:41]
	v_add_f64 v[79:80], v[34:35], -v[42:43]
	v_add_f64 v[36:37], v[44:45], v[36:37]
	v_add_f64 v[38:39], v[46:47], v[38:39]
	v_add_f64 v[40:41], v[40:41], -v[48:49]
	v_add_f64 v[42:43], v[42:43], -v[50:51]
	;; [unrolled: 1-line block ×4, first 2 shown]
	v_add_f64 v[44:45], v[73:74], v[48:49]
	v_add_f64 v[46:47], v[75:76], v[50:51]
	v_mul_f64 v[48:49], v[65:66], s[10:11]
	v_mul_f64 v[50:51], v[67:68], s[10:11]
	;; [unrolled: 1-line block ×6, first 2 shown]
	v_add_f64 v[28:29], v[28:29], v[36:37]
	v_add_f64 v[30:31], v[30:31], v[38:39]
	v_mul_f64 v[77:78], v[40:41], s[4:5]
	v_mul_f64 v[79:80], v[42:43], s[4:5]
	v_fma_f64 v[52:53], v[52:53], s[14:15], v[48:49]
	v_fma_f64 v[54:55], v[54:55], s[14:15], v[50:51]
	v_fma_f64 v[65:66], v[69:70], s[16:17], -v[65:66]
	v_fma_f64 v[67:68], v[71:72], s[16:17], -v[67:68]
	;; [unrolled: 1-line block ×4, first 2 shown]
	v_fma_f64 v[69:70], v[32:33], s[24:25], v[73:74]
	v_fma_f64 v[71:72], v[34:35], s[24:25], v[75:76]
	;; [unrolled: 1-line block ×4, first 2 shown]
	v_fma_f64 v[32:33], v[32:33], s[26:27], -v[77:78]
	v_fma_f64 v[34:35], v[34:35], s[26:27], -v[79:80]
	;; [unrolled: 1-line block ×4, first 2 shown]
	v_fma_f64 v[69:70], v[44:45], s[20:21], v[69:70]
	v_fma_f64 v[71:72], v[46:47], s[20:21], v[71:72]
	v_add_f64 v[52:53], v[52:53], v[36:37]
	v_add_f64 v[54:55], v[54:55], v[38:39]
	v_fma_f64 v[77:78], v[44:45], s[20:21], v[32:33]
	v_fma_f64 v[79:80], v[46:47], s[20:21], v[34:35]
	v_add_f64 v[48:49], v[48:49], v[36:37]
	v_add_f64 v[50:51], v[50:51], v[38:39]
	;; [unrolled: 4-line block ×3, first 2 shown]
	v_add_f64 v[32:33], v[71:72], v[52:53]
	v_add_f64 v[34:35], v[54:55], -v[69:70]
	v_add_f64 v[36:37], v[79:80], v[48:49]
	v_add_f64 v[38:39], v[50:51], -v[77:78]
	v_add_f64 v[48:49], v[48:49], -v[79:80]
	v_add_f64 v[50:51], v[77:78], v[50:51]
	v_add_f64 v[40:41], v[44:45], -v[75:76]
	v_add_f64 v[42:43], v[73:74], v[46:47]
	v_add_f64 v[44:45], v[75:76], v[44:45]
	v_add_f64 v[46:47], v[46:47], -v[73:74]
	v_add_f64 v[52:53], v[52:53], -v[71:72]
	v_add_f64 v[54:55], v[69:70], v[54:55]
	v_add3_u32 v65, 0, v101, v102
	ds_write_b128 v65, v[28:31]
	ds_write_b128 v65, v[32:35] offset:720
	ds_write_b128 v65, v[36:39] offset:1440
	;; [unrolled: 1-line block ×6, first 2 shown]
	s_and_saveexec_b64 s[2:3], vcc
	s_cbranch_execz .LBB0_27
; %bb.26:
	s_movk_i32 s28, 0x6d
	v_mul_lo_u16_sdwa v28, v57, s28 dst_sel:DWORD dst_unused:UNUSED_PAD src0_sel:BYTE_0 src1_sel:DWORD
	v_sub_u16_sdwa v29, v57, v28 dst_sel:DWORD dst_unused:UNUSED_PAD src0_sel:DWORD src1_sel:BYTE_1
	v_lshrrev_b16_e32 v29, 1, v29
	v_and_b32_e32 v29, 0x7f, v29
	v_add_u16_sdwa v28, v29, v28 dst_sel:DWORD dst_unused:UNUSED_PAD src0_sel:DWORD src1_sel:BYTE_1
	v_lshrrev_b16_e32 v28, 5, v28
	v_mul_lo_u16_e32 v28, 45, v28
	v_sub_u16_e32 v28, v57, v28
	v_and_b32_e32 v57, 0xff, v28
	v_mul_u32_u24_e32 v28, 6, v57
	v_lshlrev_b32_e32 v52, 4, v28
	global_load_dwordx4 v[28:31], v52, s[8:9] offset:720
	global_load_dwordx4 v[32:35], v52, s[8:9] offset:704
	;; [unrolled: 1-line block ×6, first 2 shown]
	s_waitcnt vmcnt(5)
	v_mul_f64 v[52:53], v[6:7], v[30:31]
	s_waitcnt vmcnt(4)
	v_mul_f64 v[54:55], v[2:3], v[34:35]
	;; [unrolled: 2-line block ×6, first 2 shown]
	v_mul_f64 v[38:39], v[16:17], v[38:39]
	v_mul_f64 v[42:43], v[20:21], v[42:43]
	;; [unrolled: 1-line block ×6, first 2 shown]
	v_fma_f64 v[4:5], v[4:5], v[28:29], -v[52:53]
	v_fma_f64 v[0:1], v[0:1], v[32:33], -v[54:55]
	;; [unrolled: 1-line block ×6, first 2 shown]
	v_fma_f64 v[18:19], v[18:19], v[36:37], v[38:39]
	v_fma_f64 v[22:23], v[22:23], v[40:41], v[42:43]
	;; [unrolled: 1-line block ×6, first 2 shown]
	v_add_f64 v[28:29], v[4:5], -v[0:1]
	v_add_f64 v[32:33], v[12:13], -v[24:25]
	v_add_f64 v[0:1], v[0:1], v[4:5]
	v_add_f64 v[36:37], v[18:19], v[22:23]
	v_add_f64 v[4:5], v[16:17], v[20:21]
	v_add_f64 v[38:39], v[14:15], v[26:27]
	v_add_f64 v[12:13], v[12:13], v[24:25]
	v_add_f64 v[30:31], v[16:17], -v[20:21]
	v_add_f64 v[34:35], v[2:3], v[6:7]
	v_add_f64 v[2:3], v[6:7], -v[2:3]
	v_add_f64 v[6:7], v[18:19], -v[22:23]
	;; [unrolled: 1-line block ×4, first 2 shown]
	v_add_f64 v[26:27], v[36:37], v[38:39]
	v_add_f64 v[42:43], v[4:5], v[12:13]
	;; [unrolled: 1-line block ×3, first 2 shown]
	v_add_f64 v[18:19], v[28:29], -v[30:31]
	v_add_f64 v[22:23], v[34:35], -v[36:37]
	;; [unrolled: 1-line block ×8, first 2 shown]
	v_add_f64 v[26:27], v[34:35], v[26:27]
	v_add_f64 v[38:39], v[0:1], v[42:43]
	;; [unrolled: 1-line block ×3, first 2 shown]
	v_add_f64 v[6:7], v[6:7], -v[14:15]
	v_add_f64 v[48:49], v[14:15], -v[2:3]
	;; [unrolled: 1-line block ×3, first 2 shown]
	v_add_f64 v[12:13], v[16:17], v[32:33]
	v_mul_f64 v[16:17], v[18:19], s[18:19]
	v_mul_f64 v[24:25], v[24:25], s[10:11]
	;; [unrolled: 1-line block ×6, first 2 shown]
	v_add_f64 v[2:3], v[10:11], v[26:27]
	v_add_f64 v[0:1], v[8:9], v[38:39]
	;; [unrolled: 1-line block ×3, first 2 shown]
	v_mul_f64 v[44:45], v[6:7], s[4:5]
	v_mul_f64 v[18:19], v[22:23], s[14:15]
	v_fma_f64 v[46:47], v[20:21], s[24:25], v[16:17]
	v_fma_f64 v[22:23], v[22:23], s[14:15], v[24:25]
	;; [unrolled: 1-line block ×4, first 2 shown]
	v_fma_f64 v[20:21], v[20:21], s[26:27], -v[42:43]
	v_fma_f64 v[28:29], v[4:5], s[22:23], -v[34:35]
	;; [unrolled: 1-line block ×3, first 2 shown]
	v_fma_f64 v[26:27], v[26:27], s[6:7], v[2:3]
	v_fma_f64 v[4:5], v[4:5], s[16:17], -v[32:33]
	v_fma_f64 v[32:33], v[38:39], s[6:7], v[0:1]
	v_fma_f64 v[24:25], v[36:37], s[22:23], -v[24:25]
	v_fma_f64 v[34:35], v[48:49], s[26:27], -v[44:45]
	;; [unrolled: 1-line block ×4, first 2 shown]
	v_fma_f64 v[30:31], v[12:13], s[20:21], v[46:47]
	v_fma_f64 v[36:37], v[14:15], s[20:21], v[8:9]
	;; [unrolled: 1-line block ×4, first 2 shown]
	v_add_f64 v[16:17], v[22:23], v[26:27]
	v_add_f64 v[40:41], v[10:11], v[32:33]
	;; [unrolled: 1-line block ×3, first 2 shown]
	v_fma_f64 v[34:35], v[14:15], s[20:21], v[34:35]
	v_add_f64 v[28:29], v[28:29], v[32:33]
	v_add_f64 v[18:19], v[18:19], v[26:27]
	v_fma_f64 v[38:39], v[14:15], s[20:21], v[6:7]
	v_add_f64 v[4:5], v[4:5], v[32:33]
	v_add_f64 v[26:27], v[16:17], -v[30:31]
	v_add_f64 v[24:25], v[36:37], v[40:41]
	v_add_f64 v[10:11], v[8:9], v[20:21]
	v_add_f64 v[22:23], v[20:21], -v[8:9]
	v_add_f64 v[20:21], v[34:35], v[28:29]
	;; [unrolled: 3-line block ×3, first 2 shown]
	v_add_f64 v[16:17], v[4:5], -v[38:39]
	v_add_f64 v[12:13], v[38:39], v[4:5]
	v_add_f64 v[8:9], v[28:29], -v[34:35]
	v_add_f64 v[4:5], v[40:41], -v[36:37]
	v_lshl_add_u32 v28, v57, 4, 0
	ds_write_b128 v28, v[0:3] offset:5040
	ds_write_b128 v28, v[24:27] offset:5760
	;; [unrolled: 1-line block ×7, first 2 shown]
.LBB0_27:
	s_or_b64 exec, exec, s[2:3]
	v_mov_b32_e32 v0, s9
	v_add_co_u32_e32 v1, vcc, s8, v60
	v_addc_co_u32_e32 v2, vcc, v0, v61, vcc
	s_movk_i32 s2, 0x1000
	v_add_co_u32_e32 v16, vcc, s2, v1
	v_addc_co_u32_e32 v17, vcc, 0, v2, vcc
	v_add_co_u32_e32 v20, vcc, s8, v62
	v_addc_co_u32_e32 v21, vcc, v0, v63, vcc
	;; [unrolled: 2-line block ×3, first 2 shown]
	s_movk_i32 s2, 0x2000
	s_waitcnt lgkmcnt(0)
	; wave barrier
	s_waitcnt lgkmcnt(0)
	global_load_dwordx4 v[0:3], v[16:17], off offset:896
	global_load_dwordx4 v[4:7], v[18:19], off offset:1904
	;; [unrolled: 1-line block ×4, first 2 shown]
	v_add_co_u32_e32 v16, vcc, s2, v20
	v_addc_co_u32_e32 v17, vcc, 0, v21, vcc
	global_load_dwordx4 v[16:19], v[16:17], off offset:832
	ds_read_b128 v[20:23], v64
	ds_read_b128 v[24:27], v64 offset:1008
	ds_read_b128 v[28:31], v64 offset:6048
	;; [unrolled: 1-line block ×9, first 2 shown]
	s_waitcnt lgkmcnt(0)
	; wave barrier
	s_waitcnt vmcnt(4) lgkmcnt(0)
	v_mul_f64 v[65:66], v[46:47], v[2:3]
	v_mul_f64 v[2:3], v[44:45], v[2:3]
	s_waitcnt vmcnt(3)
	v_mul_f64 v[67:68], v[30:31], v[6:7]
	v_mul_f64 v[6:7], v[28:29], v[6:7]
	s_waitcnt vmcnt(2)
	;; [unrolled: 3-line block ×4, first 2 shown]
	v_mul_f64 v[73:74], v[62:63], v[18:19]
	v_mul_f64 v[18:19], v[60:61], v[18:19]
	v_fma_f64 v[44:45], v[44:45], v[0:1], -v[65:66]
	v_fma_f64 v[2:3], v[46:47], v[0:1], v[2:3]
	v_fma_f64 v[28:29], v[28:29], v[4:5], -v[67:68]
	v_fma_f64 v[6:7], v[30:31], v[4:5], v[6:7]
	;; [unrolled: 2-line block ×5, first 2 shown]
	v_add_f64 v[0:1], v[20:21], -v[44:45]
	v_add_f64 v[2:3], v[22:23], -v[2:3]
	v_add_f64 v[4:5], v[24:25], -v[28:29]
	v_add_f64 v[6:7], v[26:27], -v[6:7]
	v_add_f64 v[8:9], v[36:37], -v[30:31]
	v_add_f64 v[10:11], v[38:39], -v[10:11]
	v_add_f64 v[12:13], v[40:41], -v[32:33]
	v_add_f64 v[14:15], v[42:43], -v[14:15]
	v_add_f64 v[16:17], v[48:49], -v[34:35]
	v_add_f64 v[18:19], v[50:51], -v[18:19]
	v_fma_f64 v[20:21], v[20:21], 2.0, -v[0:1]
	v_fma_f64 v[22:23], v[22:23], 2.0, -v[2:3]
	;; [unrolled: 1-line block ×10, first 2 shown]
	ds_write_b128 v64, v[0:3] offset:5040
	ds_write_b128 v64, v[4:7] offset:6048
	;; [unrolled: 1-line block ×5, first 2 shown]
	ds_write_b128 v64, v[20:23]
	ds_write_b128 v64, v[24:27] offset:1008
	ds_write_b128 v64, v[28:31] offset:2016
	;; [unrolled: 1-line block ×4, first 2 shown]
	s_waitcnt lgkmcnt(0)
	; wave barrier
	s_waitcnt lgkmcnt(0)
	s_and_saveexec_b64 s[2:3], s[0:1]
	s_cbranch_execz .LBB0_29
; %bb.28:
	v_lshl_add_u32 v10, v56, 4, 0
	v_mov_b32_e32 v57, 0
	ds_read_b128 v[0:3], v10
	v_mov_b32_e32 v4, s13
	v_add_co_u32_e32 v11, vcc, s12, v58
	v_addc_co_u32_e32 v12, vcc, v4, v59, vcc
	v_lshlrev_b64 v[4:5], 4, v[56:57]
	v_add_co_u32_e32 v8, vcc, v11, v4
	v_addc_co_u32_e32 v9, vcc, v12, v5, vcc
	ds_read_b128 v[4:7], v10 offset:1008
	s_waitcnt lgkmcnt(1)
	global_store_dwordx4 v[8:9], v[0:3], off
	s_nop 0
	v_add_u32_e32 v0, 63, v56
	v_mov_b32_e32 v1, v57
	v_lshlrev_b64 v[0:1], 4, v[0:1]
	v_add_co_u32_e32 v0, vcc, v11, v0
	v_addc_co_u32_e32 v1, vcc, v12, v1, vcc
	s_waitcnt lgkmcnt(0)
	global_store_dwordx4 v[0:1], v[4:7], off
	ds_read_b128 v[0:3], v10 offset:2016
	v_add_u32_e32 v4, 0x7e, v56
	v_mov_b32_e32 v5, v57
	v_lshlrev_b64 v[4:5], 4, v[4:5]
	v_add_co_u32_e32 v8, vcc, v11, v4
	v_addc_co_u32_e32 v9, vcc, v12, v5, vcc
	ds_read_b128 v[4:7], v10 offset:3024
	s_waitcnt lgkmcnt(1)
	global_store_dwordx4 v[8:9], v[0:3], off
	s_nop 0
	v_add_u32_e32 v0, 0xbd, v56
	v_mov_b32_e32 v1, v57
	v_lshlrev_b64 v[0:1], 4, v[0:1]
	v_add_co_u32_e32 v0, vcc, v11, v0
	v_addc_co_u32_e32 v1, vcc, v12, v1, vcc
	s_waitcnt lgkmcnt(0)
	global_store_dwordx4 v[0:1], v[4:7], off
	ds_read_b128 v[0:3], v10 offset:4032
	v_add_u32_e32 v4, 0xfc, v56
	v_mov_b32_e32 v5, v57
	v_lshlrev_b64 v[4:5], 4, v[4:5]
	v_add_co_u32_e32 v8, vcc, v11, v4
	v_addc_co_u32_e32 v9, vcc, v12, v5, vcc
	ds_read_b128 v[4:7], v10 offset:5040
	s_waitcnt lgkmcnt(1)
	global_store_dwordx4 v[8:9], v[0:3], off
	s_nop 0
	v_add_u32_e32 v0, 0x13b, v56
	v_mov_b32_e32 v1, v57
	v_lshlrev_b64 v[0:1], 4, v[0:1]
	v_add_co_u32_e32 v0, vcc, v11, v0
	v_addc_co_u32_e32 v1, vcc, v12, v1, vcc
	s_waitcnt lgkmcnt(0)
	global_store_dwordx4 v[0:1], v[4:7], off
	ds_read_b128 v[0:3], v10 offset:6048
	v_add_u32_e32 v4, 0x17a, v56
	v_mov_b32_e32 v5, v57
	v_lshlrev_b64 v[4:5], 4, v[4:5]
	v_add_co_u32_e32 v8, vcc, v11, v4
	v_addc_co_u32_e32 v9, vcc, v12, v5, vcc
	ds_read_b128 v[4:7], v10 offset:7056
	s_waitcnt lgkmcnt(1)
	global_store_dwordx4 v[8:9], v[0:3], off
	s_nop 0
	v_add_u32_e32 v0, 0x1b9, v56
	v_mov_b32_e32 v1, v57
	v_lshlrev_b64 v[0:1], 4, v[0:1]
	v_add_co_u32_e32 v0, vcc, v11, v0
	v_addc_co_u32_e32 v1, vcc, v12, v1, vcc
	s_waitcnt lgkmcnt(0)
	global_store_dwordx4 v[0:1], v[4:7], off
	ds_read_b128 v[0:3], v10 offset:8064
	v_add_u32_e32 v4, 0x1f8, v56
	v_mov_b32_e32 v5, v57
	v_lshlrev_b64 v[4:5], 4, v[4:5]
	v_add_u32_e32 v56, 0x237, v56
	v_add_co_u32_e32 v8, vcc, v11, v4
	v_addc_co_u32_e32 v9, vcc, v12, v5, vcc
	ds_read_b128 v[4:7], v10 offset:9072
	s_waitcnt lgkmcnt(1)
	global_store_dwordx4 v[8:9], v[0:3], off
	s_nop 0
	v_lshlrev_b64 v[0:1], 4, v[56:57]
	v_add_co_u32_e32 v0, vcc, v11, v0
	v_addc_co_u32_e32 v1, vcc, v12, v1, vcc
	s_waitcnt lgkmcnt(0)
	global_store_dwordx4 v[0:1], v[4:7], off
.LBB0_29:
	s_endpgm
	.section	.rodata,"a",@progbits
	.p2align	6, 0x0
	.amdhsa_kernel fft_rtc_fwd_len630_factors_3_3_5_7_2_wgs_63_tpt_63_halfLds_dp_ip_CI_unitstride_sbrr_C2R_dirReg
		.amdhsa_group_segment_fixed_size 0
		.amdhsa_private_segment_fixed_size 0
		.amdhsa_kernarg_size 88
		.amdhsa_user_sgpr_count 6
		.amdhsa_user_sgpr_private_segment_buffer 1
		.amdhsa_user_sgpr_dispatch_ptr 0
		.amdhsa_user_sgpr_queue_ptr 0
		.amdhsa_user_sgpr_kernarg_segment_ptr 1
		.amdhsa_user_sgpr_dispatch_id 0
		.amdhsa_user_sgpr_flat_scratch_init 0
		.amdhsa_user_sgpr_private_segment_size 0
		.amdhsa_uses_dynamic_stack 0
		.amdhsa_system_sgpr_private_segment_wavefront_offset 0
		.amdhsa_system_sgpr_workgroup_id_x 1
		.amdhsa_system_sgpr_workgroup_id_y 0
		.amdhsa_system_sgpr_workgroup_id_z 0
		.amdhsa_system_sgpr_workgroup_info 0
		.amdhsa_system_vgpr_workitem_id 0
		.amdhsa_next_free_vgpr 113
		.amdhsa_next_free_sgpr 29
		.amdhsa_reserve_vcc 1
		.amdhsa_reserve_flat_scratch 0
		.amdhsa_float_round_mode_32 0
		.amdhsa_float_round_mode_16_64 0
		.amdhsa_float_denorm_mode_32 3
		.amdhsa_float_denorm_mode_16_64 3
		.amdhsa_dx10_clamp 1
		.amdhsa_ieee_mode 1
		.amdhsa_fp16_overflow 0
		.amdhsa_exception_fp_ieee_invalid_op 0
		.amdhsa_exception_fp_denorm_src 0
		.amdhsa_exception_fp_ieee_div_zero 0
		.amdhsa_exception_fp_ieee_overflow 0
		.amdhsa_exception_fp_ieee_underflow 0
		.amdhsa_exception_fp_ieee_inexact 0
		.amdhsa_exception_int_div_zero 0
	.end_amdhsa_kernel
	.text
.Lfunc_end0:
	.size	fft_rtc_fwd_len630_factors_3_3_5_7_2_wgs_63_tpt_63_halfLds_dp_ip_CI_unitstride_sbrr_C2R_dirReg, .Lfunc_end0-fft_rtc_fwd_len630_factors_3_3_5_7_2_wgs_63_tpt_63_halfLds_dp_ip_CI_unitstride_sbrr_C2R_dirReg
                                        ; -- End function
	.section	.AMDGPU.csdata,"",@progbits
; Kernel info:
; codeLenInByte = 9516
; NumSgprs: 33
; NumVgprs: 113
; ScratchSize: 0
; MemoryBound: 0
; FloatMode: 240
; IeeeMode: 1
; LDSByteSize: 0 bytes/workgroup (compile time only)
; SGPRBlocks: 4
; VGPRBlocks: 28
; NumSGPRsForWavesPerEU: 33
; NumVGPRsForWavesPerEU: 113
; Occupancy: 2
; WaveLimiterHint : 1
; COMPUTE_PGM_RSRC2:SCRATCH_EN: 0
; COMPUTE_PGM_RSRC2:USER_SGPR: 6
; COMPUTE_PGM_RSRC2:TRAP_HANDLER: 0
; COMPUTE_PGM_RSRC2:TGID_X_EN: 1
; COMPUTE_PGM_RSRC2:TGID_Y_EN: 0
; COMPUTE_PGM_RSRC2:TGID_Z_EN: 0
; COMPUTE_PGM_RSRC2:TIDIG_COMP_CNT: 0
	.type	__hip_cuid_9418cb26e75f2ff7,@object ; @__hip_cuid_9418cb26e75f2ff7
	.section	.bss,"aw",@nobits
	.globl	__hip_cuid_9418cb26e75f2ff7
__hip_cuid_9418cb26e75f2ff7:
	.byte	0                               ; 0x0
	.size	__hip_cuid_9418cb26e75f2ff7, 1

	.ident	"AMD clang version 19.0.0git (https://github.com/RadeonOpenCompute/llvm-project roc-6.4.0 25133 c7fe45cf4b819c5991fe208aaa96edf142730f1d)"
	.section	".note.GNU-stack","",@progbits
	.addrsig
	.addrsig_sym __hip_cuid_9418cb26e75f2ff7
	.amdgpu_metadata
---
amdhsa.kernels:
  - .args:
      - .actual_access:  read_only
        .address_space:  global
        .offset:         0
        .size:           8
        .value_kind:     global_buffer
      - .offset:         8
        .size:           8
        .value_kind:     by_value
      - .actual_access:  read_only
        .address_space:  global
        .offset:         16
        .size:           8
        .value_kind:     global_buffer
      - .actual_access:  read_only
        .address_space:  global
        .offset:         24
        .size:           8
        .value_kind:     global_buffer
      - .offset:         32
        .size:           8
        .value_kind:     by_value
      - .actual_access:  read_only
        .address_space:  global
        .offset:         40
        .size:           8
        .value_kind:     global_buffer
      - .actual_access:  read_only
        .address_space:  global
        .offset:         48
        .size:           8
        .value_kind:     global_buffer
      - .offset:         56
        .size:           4
        .value_kind:     by_value
      - .actual_access:  read_only
        .address_space:  global
        .offset:         64
        .size:           8
        .value_kind:     global_buffer
      - .actual_access:  read_only
        .address_space:  global
        .offset:         72
        .size:           8
        .value_kind:     global_buffer
      - .address_space:  global
        .offset:         80
        .size:           8
        .value_kind:     global_buffer
    .group_segment_fixed_size: 0
    .kernarg_segment_align: 8
    .kernarg_segment_size: 88
    .language:       OpenCL C
    .language_version:
      - 2
      - 0
    .max_flat_workgroup_size: 63
    .name:           fft_rtc_fwd_len630_factors_3_3_5_7_2_wgs_63_tpt_63_halfLds_dp_ip_CI_unitstride_sbrr_C2R_dirReg
    .private_segment_fixed_size: 0
    .sgpr_count:     33
    .sgpr_spill_count: 0
    .symbol:         fft_rtc_fwd_len630_factors_3_3_5_7_2_wgs_63_tpt_63_halfLds_dp_ip_CI_unitstride_sbrr_C2R_dirReg.kd
    .uniform_work_group_size: 1
    .uses_dynamic_stack: false
    .vgpr_count:     113
    .vgpr_spill_count: 0
    .wavefront_size: 64
amdhsa.target:   amdgcn-amd-amdhsa--gfx906
amdhsa.version:
  - 1
  - 2
...

	.end_amdgpu_metadata
